;; amdgpu-corpus repo=ROCm/rocFFT kind=compiled arch=gfx1201 opt=O3
	.text
	.amdgcn_target "amdgcn-amd-amdhsa--gfx1201"
	.amdhsa_code_object_version 6
	.protected	fft_rtc_back_len50_factors_10_5_wgs_50_tpt_5_half_op_CI_CI_sbrc_xy_z_unaligned ; -- Begin function fft_rtc_back_len50_factors_10_5_wgs_50_tpt_5_half_op_CI_CI_sbrc_xy_z_unaligned
	.globl	fft_rtc_back_len50_factors_10_5_wgs_50_tpt_5_half_op_CI_CI_sbrc_xy_z_unaligned
	.p2align	8
	.type	fft_rtc_back_len50_factors_10_5_wgs_50_tpt_5_half_op_CI_CI_sbrc_xy_z_unaligned,@function
fft_rtc_back_len50_factors_10_5_wgs_50_tpt_5_half_op_CI_CI_sbrc_xy_z_unaligned: ; @fft_rtc_back_len50_factors_10_5_wgs_50_tpt_5_half_op_CI_CI_sbrc_xy_z_unaligned
; %bb.0:
	s_load_b128 s[4:7], s[0:1], 0x10
	s_mov_b32 s2, ttmp9
	s_mov_b64 s[28:29], 0
	s_wait_kmcnt 0x0
	s_load_b128 s[8:11], s[4:5], 0x8
	s_clause 0x1
	s_load_b128 s[16:19], s[6:7], 0x0
	s_load_b64 s[24:25], s[6:7], 0x10
	s_wait_kmcnt 0x0
	s_add_co_i32 s3, s10, -1
	s_delay_alu instid0(SALU_CYCLE_1) | instskip(NEXT) | instid1(SALU_CYCLE_1)
	s_mul_hi_u32 s3, s3, 0xcccccccd
	s_lshr_b32 s3, s3, 3
	s_delay_alu instid0(SALU_CYCLE_1) | instskip(NEXT) | instid1(SALU_CYCLE_1)
	s_add_co_i32 s3, s3, 1
	s_mul_i32 s4, s3, s8
	s_delay_alu instid0(SALU_CYCLE_1) | instskip(SKIP_1) | instid1(SALU_CYCLE_2)
	s_cvt_f32_u32 s3, s4
	s_sub_co_i32 s5, 0, s4
	v_rcp_iflag_f32_e32 v1, s3
	s_delay_alu instid0(TRANS32_DEP_1) | instskip(SKIP_1) | instid1(VALU_DEP_2)
	v_readfirstlane_b32 s3, v1
	v_cvt_f32_u32_e32 v1, s8
	s_mul_f32 s3, s3, 0x4f7ffffe
	s_wait_alu 0xfffe
	s_delay_alu instid0(SALU_CYCLE_2) | instskip(SKIP_1) | instid1(SALU_CYCLE_2)
	s_cvt_u32_f32 s3, s3
	s_wait_alu 0xfffe
	s_mul_i32 s5, s5, s3
	s_delay_alu instid0(SALU_CYCLE_1) | instskip(NEXT) | instid1(SALU_CYCLE_1)
	s_mul_hi_u32 s5, s3, s5
	s_add_co_i32 s3, s3, s5
	s_wait_alu 0xfffe
	s_mul_hi_u32 s3, ttmp9, s3
	s_wait_alu 0xfffe
	s_mul_i32 s5, s3, s4
	s_add_co_i32 s11, s3, 1
	s_sub_co_i32 s5, ttmp9, s5
	s_delay_alu instid0(SALU_CYCLE_1)
	s_sub_co_i32 s12, s5, s4
	s_cmp_ge_u32 s5, s4
	s_cselect_b32 s3, s11, s3
	s_cselect_b32 s5, s12, s5
	s_wait_alu 0xfffe
	s_add_co_i32 s11, s3, 1
	s_cmp_ge_u32 s5, s4
	s_cselect_b32 s20, s11, s3
	s_mov_b32 s3, 0
	s_mul_i32 s4, s20, s4
	s_wait_alu 0xfffe
	s_mov_b32 s5, s3
	s_sub_co_i32 s4, ttmp9, s4
	s_delay_alu instid0(SALU_CYCLE_1) | instskip(NEXT) | instid1(VALU_DEP_1)
	v_cmp_lt_u64_e64 s5, s[4:5], s[8:9]
	s_and_b32 vcc_lo, exec_lo, s5
	s_cbranch_vccnz .LBB0_2
; %bb.1:
	v_rcp_iflag_f32_e32 v2, v1
	s_sub_co_i32 s11, 0, s8
	s_delay_alu instid0(TRANS32_DEP_1) | instskip(NEXT) | instid1(VALU_DEP_1)
	v_mul_f32_e32 v2, 0x4f7ffffe, v2
	v_cvt_u32_f32_e32 v2, v2
	s_delay_alu instid0(VALU_DEP_1) | instskip(NEXT) | instid1(VALU_DEP_1)
	v_readfirstlane_b32 s5, v2
	s_mul_i32 s11, s11, s5
	s_delay_alu instid0(SALU_CYCLE_1) | instskip(NEXT) | instid1(SALU_CYCLE_1)
	s_mul_hi_u32 s11, s5, s11
	s_add_co_i32 s5, s5, s11
	s_wait_alu 0xfffe
	s_mul_hi_u32 s5, s4, s5
	s_wait_alu 0xfffe
	s_mul_i32 s11, s5, s8
	s_delay_alu instid0(SALU_CYCLE_1)
	s_sub_co_i32 s4, s4, s11
	s_add_co_i32 s11, s5, 1
	s_wait_alu 0xfffe
	s_sub_co_i32 s12, s4, s8
	s_cmp_ge_u32 s4, s8
	s_cselect_b32 s5, s11, s5
	s_cselect_b32 s4, s12, s4
	s_wait_alu 0xfffe
	s_add_co_i32 s11, s5, 1
	s_cmp_ge_u32 s4, s8
	s_cselect_b32 s28, s11, s5
.LBB0_2:
	s_load_b64 s[22:23], s[0:1], 0x20
	v_cmp_lt_u64_e64 s3, s[2:3], s[8:9]
	s_delay_alu instid0(VALU_DEP_1)
	s_and_b32 vcc_lo, exec_lo, s3
	s_cbranch_vccnz .LBB0_4
; %bb.3:
	v_rcp_iflag_f32_e32 v1, v1
	s_sub_co_i32 s4, 0, s8
	s_delay_alu instid0(TRANS32_DEP_1) | instskip(NEXT) | instid1(VALU_DEP_1)
	v_mul_f32_e32 v1, 0x4f7ffffe, v1
	v_cvt_u32_f32_e32 v1, v1
	s_delay_alu instid0(VALU_DEP_1) | instskip(SKIP_1) | instid1(VALU_DEP_1)
	v_readfirstlane_b32 s3, v1
	s_wait_alu 0xfffe
	s_mul_i32 s4, s4, s3
	s_wait_alu 0xfffe
	s_mul_hi_u32 s4, s3, s4
	s_wait_alu 0xfffe
	s_add_co_i32 s3, s3, s4
	s_wait_alu 0xfffe
	s_mul_hi_u32 s3, s2, s3
	s_wait_alu 0xfffe
	s_mul_i32 s3, s3, s8
	s_wait_alu 0xfffe
	s_sub_co_i32 s2, s2, s3
	s_wait_alu 0xfffe
	s_sub_co_i32 s3, s2, s8
	s_cmp_ge_u32 s2, s8
	s_wait_alu 0xfffe
	s_cselect_b32 s2, s3, s2
	s_wait_alu 0xfffe
	s_sub_co_i32 s3, s2, s8
	s_cmp_ge_u32 s2, s8
	s_wait_alu 0xfffe
	s_cselect_b32 s2, s3, s2
.LBB0_4:
	s_clause 0x1
	s_load_b128 s[12:15], s[0:1], 0x0
	s_load_b64 s[26:27], s[0:1], 0x58
	v_mul_u32_u24_e32 v1, 0x51f, v0
	s_mov_b32 s19, 0
	s_mov_b32 s3, -1
	s_mov_b32 s21, s19
	s_delay_alu instid0(VALU_DEP_1) | instskip(NEXT) | instid1(VALU_DEP_1)
	v_lshrrev_b32_e32 v3, 16, v1
	v_mul_lo_u16 v1, v3, 50
	s_delay_alu instid0(VALU_DEP_1) | instskip(SKIP_2) | instid1(VALU_DEP_1)
	v_sub_nc_u16 v1, v0, v1
	s_wait_kmcnt 0x0
	s_lshl_b64 s[4:5], s[14:15], 3
	v_and_b32_e32 v4, 0xffff, v1
	s_wait_alu 0xfffe
	s_add_nc_u64 s[6:7], s[6:7], s[4:5]
	s_add_nc_u64 s[8:9], s[22:23], s[4:5]
	s_load_b64 s[30:31], s[6:7], 0x0
	s_clause 0x2
	s_load_b128 s[4:7], s[22:23], 0x0
	s_load_b64 s[22:23], s[22:23], 0x10
	s_load_b64 s[14:15], s[8:9], 0x0
	s_mul_i32 s8, s28, 10
	s_wait_kmcnt 0x0
	s_mul_i32 s7, s2, s18
	s_wait_alu 0xfffe
	s_mul_i32 s9, s8, s24
	s_add_co_i32 s11, s8, 10
	s_wait_alu 0xfffe
	s_add_co_i32 s18, s7, s9
	s_cmp_le_u32 s11, s10
	s_cselect_b32 s7, -1, 0
	s_delay_alu instid0(SALU_CYCLE_1) | instskip(SKIP_1) | instid1(SALU_CYCLE_1)
	s_and_b32 vcc_lo, exec_lo, s7
	s_mul_u64 s[28:29], s[30:31], s[20:21]
	s_add_nc_u64 s[18:19], s[28:29], s[18:19]
	s_cbranch_vccnz .LBB0_9
; %bb.5:
	v_add_nc_u32_e32 v5, s8, v3
	s_mov_b32 s3, exec_lo
	s_delay_alu instid0(VALU_DEP_1)
	v_cmpx_gt_u32_e64 s10, v5
	s_cbranch_execz .LBB0_8
; %bb.6:
	v_mad_co_u64_u32 v[1:2], null, s16, v4, 0
	s_lshl_b64 s[28:29], s[18:19], 2
	s_mov_b32 s9, 0
	s_add_nc_u64 s[28:29], s[26:27], s[28:29]
	s_mov_b32 s11, 0
	v_lshlrev_b32_e32 v9, 2, v4
	s_delay_alu instid0(VALU_DEP_2) | instskip(NEXT) | instid1(VALU_DEP_1)
	v_mad_co_u64_u32 v[6:7], null, s17, v4, v[2:3]
	v_mov_b32_e32 v2, v6
	v_mul_u32_u24_e32 v6, 0xc8, v3
	s_delay_alu instid0(VALU_DEP_2) | instskip(SKIP_1) | instid1(VALU_DEP_3)
	v_lshlrev_b64_e32 v[7:8], 2, v[1:2]
	v_mul_lo_u32 v1, v3, s24
	v_add3_u32 v6, v6, v9, 0
	v_mov_b32_e32 v2, 0
	s_delay_alu instid0(VALU_DEP_4)
	v_add_co_u32 v7, vcc_lo, s28, v7
	v_add_co_ci_u32_e32 v8, vcc_lo, s29, v8, vcc_lo
.LBB0_7:                                ; =>This Inner Loop Header: Depth=1
	s_delay_alu instid0(VALU_DEP_3) | instskip(SKIP_3) | instid1(VALU_DEP_2)
	v_lshlrev_b64_e32 v[9:10], 2, v[1:2]
	s_wait_alu 0xfffe
	s_add_co_i32 s11, s11, 1
	v_add_nc_u32_e32 v1, s24, v1
	v_add_co_u32 v9, vcc_lo, v7, v9
	s_wait_alu 0xfffd
	v_add_co_ci_u32_e32 v10, vcc_lo, v8, v10, vcc_lo
	global_load_b32 v9, v[9:10], off
	s_wait_alu 0xfffe
	v_add_nc_u32_e32 v10, s11, v5
	s_delay_alu instid0(VALU_DEP_1)
	v_cmp_le_u32_e32 vcc_lo, s10, v10
	s_or_b32 s9, vcc_lo, s9
	s_wait_loadcnt 0x0
	ds_store_b32 v6, v9
	v_add_nc_u32_e32 v6, 0xc8, v6
	s_wait_alu 0xfffe
	s_and_not1_b32 exec_lo, exec_lo, s9
	s_cbranch_execnz .LBB0_7
.LBB0_8:
	s_wait_alu 0xfffe
	s_or_b32 exec_lo, exec_lo, s3
	s_mov_b32 s3, 0
.LBB0_9:
	s_wait_alu 0xfffe
	s_and_not1_b32 vcc_lo, exec_lo, s3
	s_wait_alu 0xfffe
	s_cbranch_vccnz .LBB0_11
; %bb.10:
	v_mad_co_u64_u32 v[1:2], null, s16, v4, 0
	v_mul_lo_u32 v5, s24, v3
	v_mov_b32_e32 v6, 0
	s_delay_alu instid0(VALU_DEP_3) | instskip(NEXT) | instid1(VALU_DEP_2)
	v_mad_co_u64_u32 v[9:10], null, s17, v4, v[2:3]
	v_lshlrev_b64_e32 v[7:8], 2, v[5:6]
	v_add_nc_u32_e32 v5, s24, v5
	s_lshl_b64 s[16:17], s[18:19], 2
	v_mul_u32_u24_e32 v3, 0xc8, v3
	s_wait_alu 0xfffe
	s_add_nc_u64 s[16:17], s[26:27], s[16:17]
	v_lshlrev_b32_e32 v4, 2, v4
	v_lshlrev_b64_e32 v[10:11], 2, v[5:6]
	v_dual_mov_b32 v2, v9 :: v_dual_add_nc_u32 v5, s24, v5
	s_delay_alu instid0(VALU_DEP_3) | instskip(NEXT) | instid1(VALU_DEP_2)
	v_add3_u32 v3, 0, v3, v4
	v_lshlrev_b64_e32 v[12:13], 2, v[5:6]
	s_delay_alu instid0(VALU_DEP_3) | instskip(SKIP_1) | instid1(VALU_DEP_4)
	v_lshlrev_b64_e32 v[1:2], 2, v[1:2]
	v_add_nc_u32_e32 v5, s24, v5
	v_add_nc_u32_e32 v4, 0x400, v3
	s_delay_alu instid0(VALU_DEP_2) | instskip(SKIP_1) | instid1(VALU_DEP_4)
	v_lshlrev_b64_e32 v[14:15], 2, v[5:6]
	s_wait_alu 0xfffe
	v_add_co_u32 v23, vcc_lo, s16, v1
	s_wait_alu 0xfffd
	v_add_co_ci_u32_e32 v24, vcc_lo, s17, v2, vcc_lo
	v_add_nc_u32_e32 v5, s24, v5
	s_delay_alu instid0(VALU_DEP_3) | instskip(SKIP_1) | instid1(VALU_DEP_3)
	v_add_co_u32 v1, vcc_lo, v23, v7
	s_wait_alu 0xfffd
	v_add_co_ci_u32_e32 v2, vcc_lo, v24, v8, vcc_lo
	v_add_co_u32 v7, vcc_lo, v23, v10
	v_lshlrev_b64_e32 v[16:17], 2, v[5:6]
	v_add_nc_u32_e32 v5, s24, v5
	s_wait_alu 0xfffd
	v_add_co_ci_u32_e32 v8, vcc_lo, v24, v11, vcc_lo
	v_add_co_u32 v9, vcc_lo, v23, v12
	s_wait_alu 0xfffd
	v_add_co_ci_u32_e32 v10, vcc_lo, v24, v13, vcc_lo
	v_add_co_u32 v11, vcc_lo, v23, v14
	v_lshlrev_b64_e32 v[13:14], 2, v[5:6]
	v_add_nc_u32_e32 v5, s24, v5
	s_wait_alu 0xfffd
	v_add_co_ci_u32_e32 v12, vcc_lo, v24, v15, vcc_lo
	v_add_co_u32 v15, vcc_lo, v23, v16
	s_wait_alu 0xfffd
	v_add_co_ci_u32_e32 v16, vcc_lo, v24, v17, vcc_lo
	v_lshlrev_b64_e32 v[17:18], 2, v[5:6]
	v_add_nc_u32_e32 v5, s24, v5
	v_add_co_u32 v13, vcc_lo, v23, v13
	s_wait_alu 0xfffd
	v_add_co_ci_u32_e32 v14, vcc_lo, v24, v14, vcc_lo
	s_delay_alu instid0(VALU_DEP_3) | instskip(SKIP_4) | instid1(VALU_DEP_3)
	v_lshlrev_b64_e32 v[19:20], 2, v[5:6]
	v_add_nc_u32_e32 v5, s24, v5
	v_add_co_u32 v17, vcc_lo, v23, v17
	s_wait_alu 0xfffd
	v_add_co_ci_u32_e32 v18, vcc_lo, v24, v18, vcc_lo
	v_lshlrev_b64_e32 v[21:22], 2, v[5:6]
	v_add_nc_u32_e32 v5, s24, v5
	v_add_co_u32 v19, vcc_lo, v23, v19
	s_wait_alu 0xfffd
	v_add_co_ci_u32_e32 v20, vcc_lo, v24, v20, vcc_lo
	s_delay_alu instid0(VALU_DEP_3) | instskip(SKIP_3) | instid1(VALU_DEP_3)
	v_lshlrev_b64_e32 v[5:6], 2, v[5:6]
	v_add_co_u32 v21, vcc_lo, v23, v21
	s_wait_alu 0xfffd
	v_add_co_ci_u32_e32 v22, vcc_lo, v24, v22, vcc_lo
	v_add_co_u32 v5, vcc_lo, v23, v5
	s_wait_alu 0xfffd
	v_add_co_ci_u32_e32 v6, vcc_lo, v24, v6, vcc_lo
	s_clause 0x9
	global_load_b32 v1, v[1:2], off
	global_load_b32 v2, v[7:8], off
	;; [unrolled: 1-line block ×10, first 2 shown]
	s_wait_loadcnt 0x8
	ds_store_2addr_b32 v3, v1, v2 offset1:50
	s_wait_loadcnt 0x6
	ds_store_2addr_b32 v3, v7, v8 offset0:100 offset1:150
	s_wait_loadcnt 0x4
	ds_store_2addr_b32 v3, v9, v10 offset0:200 offset1:250
	s_wait_loadcnt 0x2
	ds_store_2addr_b32 v4, v11, v12 offset0:44 offset1:94
	s_wait_loadcnt 0x0
	ds_store_2addr_b32 v4, v13, v5 offset0:144 offset1:194
.LBB0_11:
	v_and_b32_e32 v1, 0xffff, v0
	v_mul_hi_u32 v3, 0x33333334, v0
	global_wb scope:SCOPE_SE
	s_wait_dscnt 0x0
	s_barrier_signal -1
	s_barrier_wait -1
	v_mul_u32_u24_e32 v1, 0x3334, v1
	global_inv scope:SCOPE_SE
	s_mov_b32 s3, 0
	v_mul_u32_u24_e32 v3, 5, v3
	v_lshrrev_b32_e32 v1, 16, v1
	s_delay_alu instid0(VALU_DEP_1) | instskip(NEXT) | instid1(VALU_DEP_1)
	v_add_nc_u32_e32 v1, s8, v1
	v_mul_hi_u32 v2, 0xcccccccd, v1
	s_delay_alu instid0(VALU_DEP_1) | instskip(NEXT) | instid1(VALU_DEP_1)
	v_lshrrev_b32_e32 v2, 3, v2
	v_mul_lo_u32 v2, v2, 10
	s_delay_alu instid0(VALU_DEP_1) | instskip(SKIP_1) | instid1(VALU_DEP_2)
	v_sub_nc_u32_e32 v1, v1, v2
	v_sub_nc_u32_e32 v2, v0, v3
	v_mul_u32_u24_e32 v1, 50, v1
	s_delay_alu instid0(VALU_DEP_2) | instskip(NEXT) | instid1(VALU_DEP_2)
	v_lshlrev_b32_e32 v3, 2, v2
	v_lshlrev_b32_e32 v4, 2, v1
	s_delay_alu instid0(VALU_DEP_1)
	v_add3_u32 v1, 0, v3, v4
	v_add3_u32 v3, 0, v4, v3
	ds_load_2addr_b32 v[5:6], v1 offset0:15 offset1:20
	ds_load_2addr_b32 v[7:8], v1 offset0:25 offset1:30
	;; [unrolled: 1-line block ×4, first 2 shown]
	ds_load_b32 v13, v3
	ds_load_b32 v14, v1 offset:180
	v_mad_u32_u24 v4, v2, 36, v1
	global_wb scope:SCOPE_SE
	s_wait_dscnt 0x0
	s_barrier_signal -1
	s_barrier_wait -1
	global_inv scope:SCOPE_SE
	v_lshrrev_b32_e32 v18, 16, v6
	v_add_f16_e32 v15, v6, v8
	v_lshrrev_b32_e32 v16, 16, v10
	v_lshrrev_b32_e32 v17, 16, v12
	v_lshrrev_b32_e32 v19, 16, v8
	v_add_f16_e32 v22, v10, v12
	v_pk_add_f16 v25, v13, v10
	v_sub_f16_e32 v20, v12, v8
	v_sub_f16_e32 v21, v10, v6
	;; [unrolled: 1-line block ×4, first 2 shown]
	v_lshrrev_b32_e32 v26, 16, v13
	v_sub_f16_e32 v27, v6, v8
	v_fma_f16 v15, -0.5, v15, v13
	v_fma_f16 v13, -0.5, v22, v13
	v_pk_add_f16 v6, v25, v6
	v_add_f16_e32 v22, v18, v19
	v_add_f16_e32 v25, v16, v17
	;; [unrolled: 1-line block ×4, first 2 shown]
	v_sub_f16_e32 v23, v16, v18
	v_sub_f16_e32 v24, v17, v19
	v_pk_add_f16 v6, v6, v8
	v_fma_f16 v8, -0.5, v22, v26
	v_fmac_f16_e32 v26, -0.5, v25
	v_sub_f16_e32 v10, v10, v12
	v_add_f16_e32 v28, v7, v11
	v_lshrrev_b32_e32 v31, 16, v7
	v_lshrrev_b32_e32 v32, 16, v11
	v_sub_f16_e32 v33, v14, v11
	v_sub_f16_e32 v34, v5, v7
	v_add_f16_e32 v35, v5, v14
	v_sub_f16_e32 v38, v16, v17
	v_sub_f16_e32 v39, v18, v19
	;; [unrolled: 1-line block ×4, first 2 shown]
	v_add_f16_e32 v22, v23, v24
	v_fmamk_f16 v24, v27, 0xbb9c, v26
	v_fmac_f16_e32 v26, 0x3b9c, v27
	v_lshrrev_b32_e32 v29, 16, v5
	v_lshrrev_b32_e32 v30, 16, v14
	v_fma_f16 v18, -0.5, v28, v9
	v_sub_f16_e32 v28, v31, v32
	v_add_f16_e32 v33, v34, v33
	v_fma_f16 v34, -0.5, v35, v9
	v_fmamk_f16 v35, v38, 0xbb9c, v15
	v_fmac_f16_e32 v15, 0x3b9c, v38
	v_fmamk_f16 v40, v39, 0x3b9c, v13
	v_fmac_f16_e32 v13, 0xbb9c, v39
	v_add_f16_e32 v16, v16, v17
	v_fmac_f16_e32 v24, 0x38b4, v10
	v_fmac_f16_e32 v26, 0xb8b4, v10
	v_sub_f16_e32 v36, v11, v14
	v_sub_f16_e32 v37, v7, v5
	;; [unrolled: 1-line block ×3, first 2 shown]
	v_fmamk_f16 v23, v28, 0x3b9c, v34
	v_fmac_f16_e32 v34, 0xbb9c, v28
	v_fmac_f16_e32 v35, 0xb8b4, v39
	;; [unrolled: 1-line block ×5, first 2 shown]
	v_pk_add_f16 v6, v6, v12
	v_fmamk_f16 v12, v10, 0x3b9c, v8
	v_fmac_f16_e32 v8, 0xbb9c, v10
	v_fmac_f16_e32 v24, 0x34f2, v16
	;; [unrolled: 1-line block ×3, first 2 shown]
	v_add_f16_e32 v10, v31, v32
	v_lshrrev_b32_e32 v16, 16, v9
	v_fmamk_f16 v17, v19, 0xbb9c, v18
	v_fmac_f16_e32 v18, 0x3b9c, v19
	v_fmac_f16_e32 v35, 0x34f2, v20
	;; [unrolled: 1-line block ×8, first 2 shown]
	v_add_f16_e32 v20, v37, v36
	v_fmac_f16_e32 v34, 0x38b4, v19
	v_add_f16_e32 v19, v29, v30
	v_fma_f16 v10, -0.5, v10, v16
	v_sub_f16_e32 v21, v5, v14
	v_fmac_f16_e32 v12, 0x34f2, v22
	v_fmac_f16_e32 v8, 0x34f2, v22
	;; [unrolled: 1-line block ×3, first 2 shown]
	v_sub_f16_e32 v22, v7, v11
	v_fmac_f16_e32 v16, -0.5, v19
	v_fmac_f16_e32 v34, 0x34f2, v20
	v_fmamk_f16 v19, v21, 0x3b9c, v10
	v_sub_f16_e32 v20, v29, v31
	v_sub_f16_e32 v25, v30, v32
	v_fmac_f16_e32 v17, 0xb8b4, v28
	v_fmac_f16_e32 v18, 0x38b4, v28
	;; [unrolled: 1-line block ×3, first 2 shown]
	v_fmamk_f16 v27, v22, 0xbb9c, v16
	v_add_f16_e32 v20, v20, v25
	v_sub_f16_e32 v28, v31, v29
	v_sub_f16_e32 v29, v32, v30
	v_fmac_f16_e32 v16, 0x3b9c, v22
	v_fmac_f16_e32 v10, 0xbb9c, v21
	v_pk_add_f16 v5, v9, v5
	v_fmac_f16_e32 v19, 0x34f2, v20
	v_fmac_f16_e32 v27, 0x38b4, v21
	v_add_f16_e32 v25, v28, v29
	v_fmac_f16_e32 v16, 0xb8b4, v21
	v_fmac_f16_e32 v10, 0xb8b4, v22
	;; [unrolled: 1-line block ×3, first 2 shown]
	v_pk_add_f16 v5, v5, v7
	v_mul_f16_e32 v7, 0xb8b4, v19
	v_fmac_f16_e32 v27, 0x34f2, v25
	v_fmac_f16_e32 v16, 0x34f2, v25
	;; [unrolled: 1-line block ×5, first 2 shown]
	v_mul_f16_e32 v17, 0x38b4, v17
	v_mul_f16_e32 v9, 0xbb9c, v27
	;; [unrolled: 1-line block ×5, first 2 shown]
	v_pk_add_f16 v5, v5, v11
	v_mul_f16_e32 v11, 0xb8b4, v10
	v_mul_f16_e32 v10, 0xba79, v10
	v_fmac_f16_e32 v17, 0x3a79, v19
	v_fmac_f16_e32 v9, 0x34f2, v23
	;; [unrolled: 1-line block ×7, first 2 shown]
	v_pk_add_f16 v5, v5, v14
	v_add_f16_e32 v14, v35, v7
	v_add_f16_e32 v19, v12, v17
	;; [unrolled: 1-line block ×8, first 2 shown]
	v_sub_f16_e32 v7, v35, v7
	v_sub_f16_e32 v9, v40, v9
	;; [unrolled: 1-line block ×8, first 2 shown]
	v_pk_add_f16 v18, v6, v5
	v_pack_b32_f16 v10, v14, v19
	v_pack_b32_f16 v14, v22, v28
	;; [unrolled: 1-line block ×3, first 2 shown]
	v_pk_add_f16 v5, v6, v5 neg_lo:[0,1] neg_hi:[0,1]
	v_pack_b32_f16 v6, v27, v29
	v_pack_b32_f16 v9, v9, v15
	;; [unrolled: 1-line block ×5, first 2 shown]
	ds_store_2addr_b32 v4, v18, v10 offset1:1
	ds_store_2addr_b32 v4, v17, v14 offset0:2 offset1:3
	ds_store_2addr_b32 v4, v6, v5 offset0:4 offset1:5
	;; [unrolled: 1-line block ×4, first 2 shown]
	v_lshlrev_b32_e32 v5, 4, v2
	global_wb scope:SCOPE_SE
	s_wait_dscnt 0x0
	s_barrier_signal -1
	s_barrier_wait -1
	global_inv scope:SCOPE_SE
	v_add_nc_u32_e32 v10, 0x50, v5
	s_clause 0x1
	global_load_b128 v[6:9], v5, s[12:13]
	global_load_b128 v[10:13], v10, s[12:13]
	v_mul_hi_u32 v5, 0x1999999a, v0
	v_mad_i32_i24 v4, 0xffffffdc, v2, v4
	s_delay_alu instid0(VALU_DEP_2) | instskip(NEXT) | instid1(VALU_DEP_1)
	v_mul_u32_u24_e32 v14, 10, v5
	v_sub_nc_u32_e32 v0, v0, v14
	ds_load_b32 v21, v3
	ds_load_b32 v22, v4 offset:20
	ds_load_2addr_b32 v[2:3], v1 offset0:20 offset1:25
	ds_load_2addr_b32 v[14:15], v1 offset0:30 offset1:35
	;; [unrolled: 1-line block ×4, first 2 shown]
	v_add_nc_u32_e32 v20, s8, v0
	s_delay_alu instid0(VALU_DEP_1)
	v_cmp_gt_u32_e32 vcc_lo, s10, v20
	ds_load_u16 v20, v1 offset:62
	global_wb scope:SCOPE_SE
	s_wait_loadcnt_dscnt 0x0
	s_barrier_signal -1
	s_barrier_wait -1
	s_or_b32 s7, s7, vcc_lo
	v_lshrrev_b32_e32 v23, 16, v21
	v_lshrrev_b32_e32 v24, 16, v22
	;; [unrolled: 1-line block ×9, first 2 shown]
	global_inv scope:SCOPE_SE
	v_lshrrev_b32_e32 v32, 16, v6
	v_lshrrev_b32_e32 v33, 16, v7
	;; [unrolled: 1-line block ×8, first 2 shown]
	v_mul_f16_e32 v40, v32, v28
	v_mul_f16_e32 v32, v32, v18
	;; [unrolled: 1-line block ×16, first 2 shown]
	v_fmac_f16_e32 v40, v6, v18
	v_fma_f16 v6, v6, v28, -v32
	v_fmac_f16_e32 v41, v7, v2
	v_fma_f16 v2, v7, v29, -v33
	;; [unrolled: 2-line block ×8, first 2 shown]
	v_add_f16_e32 v13, v41, v42
	v_add_f16_e32 v18, v40, v43
	;; [unrolled: 1-line block ×6, first 2 shown]
	v_sub_f16_e32 v14, v6, v8
	v_sub_f16_e32 v15, v2, v7
	;; [unrolled: 1-line block ×11, first 2 shown]
	v_add_f16_e32 v33, v22, v44
	v_add_f16_e32 v34, v45, v46
	v_fma_f16 v13, -0.5, v13, v21
	v_fmac_f16_e32 v21, -0.5, v18
	v_add_f16_e32 v2, v25, v2
	v_fma_f16 v18, -0.5, v26, v23
	v_fmac_f16_e32 v23, -0.5, v31
	v_add_f16_e32 v49, v24, v9
	v_sub_f16_e32 v30, v8, v7
	v_add_f16_e32 v39, v44, v47
	v_add_f16_e32 v50, v3, v10
	;; [unrolled: 1-line block ×8, first 2 shown]
	v_fma_f16 v25, -0.5, v34, v22
	v_fmamk_f16 v32, v14, 0xbb9c, v13
	v_fmamk_f16 v33, v15, 0x3b9c, v21
	v_add_f16_e32 v2, v2, v7
	v_fmamk_f16 v7, v27, 0x3b9c, v18
	v_fmamk_f16 v34, v28, 0xbb9c, v23
	v_fmac_f16_e32 v13, 0x3b9c, v14
	v_fmac_f16_e32 v21, 0xbb9c, v15
	;; [unrolled: 1-line block ×4, first 2 shown]
	v_sub_f16_e32 v35, v9, v11
	v_sub_f16_e32 v36, v3, v10
	;; [unrolled: 1-line block ×4, first 2 shown]
	v_add_f16_e32 v3, v49, v3
	v_sub_f16_e32 v37, v44, v45
	v_sub_f16_e32 v38, v47, v46
	;; [unrolled: 1-line block ×5, first 2 shown]
	v_add_f16_e32 v19, v29, v30
	v_fmac_f16_e32 v22, -0.5, v39
	v_fma_f16 v30, -0.5, v50, v24
	v_fmac_f16_e32 v24, -0.5, v54
	v_add_f16_e32 v12, v12, v42
	v_fmac_f16_e32 v32, 0xb8b4, v15
	v_fmac_f16_e32 v33, 0xb8b4, v14
	;; [unrolled: 1-line block ×8, first 2 shown]
	v_add_f16_e32 v20, v20, v46
	v_add_f16_e32 v3, v3, v10
	;; [unrolled: 1-line block ×3, first 2 shown]
	v_fmamk_f16 v37, v35, 0xbb9c, v25
	v_sub_f16_e32 v48, v46, v47
	v_sub_f16_e32 v53, v11, v10
	;; [unrolled: 1-line block ×3, first 2 shown]
	v_fmac_f16_e32 v25, 0x3b9c, v35
	v_fmamk_f16 v38, v36, 0x3b9c, v22
	v_fmac_f16_e32 v22, 0xbb9c, v36
	v_fmamk_f16 v10, v44, 0x3b9c, v30
	;; [unrolled: 2-line block ×3, first 2 shown]
	v_fmac_f16_e32 v24, 0x3b9c, v51
	v_add_f16_e32 v12, v12, v43
	v_add_f16_e32 v2, v2, v8
	v_fmac_f16_e32 v32, 0x34f2, v16
	v_fmac_f16_e32 v33, 0x34f2, v17
	;; [unrolled: 1-line block ×8, first 2 shown]
	v_add_f16_e32 v8, v20, v47
	v_add_f16_e32 v3, v3, v11
	v_fmac_f16_e32 v37, 0xb8b4, v36
	v_add_f16_e32 v29, v40, v48
	v_add_f16_e32 v31, v52, v53
	;; [unrolled: 1-line block ×3, first 2 shown]
	v_fmac_f16_e32 v25, 0x38b4, v36
	v_fmac_f16_e32 v38, 0xb8b4, v35
	;; [unrolled: 1-line block ×7, first 2 shown]
	v_pack_b32_f16 v2, v12, v2
	v_pack_b32_f16 v6, v32, v7
	;; [unrolled: 1-line block ×6, first 2 shown]
	v_fmac_f16_e32 v37, 0x34f2, v26
	v_fmac_f16_e32 v25, 0x34f2, v26
	;; [unrolled: 1-line block ×8, first 2 shown]
	ds_store_b32 v4, v2
	ds_store_2addr_b32 v1, v6, v7 offset0:10 offset1:20
	ds_store_2addr_b32 v1, v11, v12 offset0:30 offset1:40
	ds_store_b32 v4, v3 offset:20
	ds_store_b16 v4, v37 offset:60
	ds_store_b16 v4, v10 offset:62
	;; [unrolled: 1-line block ×8, first 2 shown]
	global_wb scope:SCOPE_SE
	s_wait_dscnt 0x0
	s_barrier_signal -1
	s_barrier_wait -1
	global_inv scope:SCOPE_SE
	s_and_saveexec_b32 s9, s7
	s_cbranch_execz .LBB0_13
; %bb.12:
	v_mad_co_u64_u32 v[1:2], null, s4, v0, 0
	v_mul_lo_u32 v3, v5, s6
	s_load_b64 s[0:1], s[0:1], 0x60
	v_mul_i32_i24_e32 v8, 0xc8, v0
	s_mul_i32 s6, s6, 5
	v_mov_b32_e32 v4, 0
	s_mov_b32 s9, s3
	s_mul_i32 s2, s2, s22
	s_mul_u64 s[10:11], s[14:15], s[20:21]
	v_mad_co_u64_u32 v[6:7], null, s5, v0, v[2:3]
	v_lshlrev_b32_e32 v0, 2, v5
	s_wait_alu 0xfffe
	s_mul_u64 s[4:5], s[4:5], s[8:9]
	s_lshl_b64 s[2:3], s[2:3], 2
	s_wait_alu 0xfffe
	s_lshl_b64 s[4:5], s[4:5], 2
	v_add3_u32 v19, 0, v8, v0
	v_mov_b32_e32 v2, v6
	v_lshlrev_b64_e32 v[5:6], 2, v[3:4]
	v_add_nc_u32_e32 v3, s6, v3
	ds_load_2addr_b32 v[7:8], v19 offset1:5
	s_wait_kmcnt 0x0
	s_wait_alu 0xfffe
	s_add_nc_u64 s[0:1], s[0:1], s[4:5]
	s_lshl_b64 s[4:5], s[10:11], 2
	v_lshlrev_b64_e32 v[9:10], 2, v[3:4]
	v_add_nc_u32_e32 v3, s6, v3
	v_lshlrev_b64_e32 v[0:1], 2, v[1:2]
	s_add_nc_u64 s[0:1], s[0:1], s[2:3]
	ds_load_2addr_b32 v[13:14], v19 offset0:20 offset1:25
	s_wait_alu 0xfffe
	s_add_nc_u64 s[0:1], s[0:1], s[4:5]
	v_lshlrev_b64_e32 v[11:12], 2, v[3:4]
	v_add_nc_u32_e32 v3, s6, v3
	v_add_co_u32 v20, vcc_lo, s0, v0
	s_wait_alu 0xfffd
	v_add_co_ci_u32_e32 v21, vcc_lo, s1, v1, vcc_lo
	s_delay_alu instid0(VALU_DEP_2) | instskip(SKIP_1) | instid1(VALU_DEP_2)
	v_add_co_u32 v0, vcc_lo, v20, v5
	s_wait_alu 0xfffd
	v_add_co_ci_u32_e32 v1, vcc_lo, v21, v6, vcc_lo
	ds_load_2addr_b32 v[5:6], v19 offset0:10 offset1:15
	s_wait_dscnt 0x2
	global_store_b32 v[0:1], v7, off
	v_add_co_u32 v0, vcc_lo, v20, v9
	s_wait_alu 0xfffd
	v_add_co_ci_u32_e32 v1, vcc_lo, v21, v10, vcc_lo
	v_lshlrev_b64_e32 v[9:10], 2, v[3:4]
	v_add_nc_u32_e32 v3, s6, v3
	v_add_co_u32 v11, vcc_lo, v20, v11
	s_wait_alu 0xfffd
	v_add_co_ci_u32_e32 v12, vcc_lo, v21, v12, vcc_lo
	s_delay_alu instid0(VALU_DEP_3) | instskip(SKIP_4) | instid1(VALU_DEP_3)
	v_lshlrev_b64_e32 v[15:16], 2, v[3:4]
	v_add_nc_u32_e32 v3, s6, v3
	v_add_co_u32 v9, vcc_lo, v20, v9
	s_wait_alu 0xfffd
	v_add_co_ci_u32_e32 v10, vcc_lo, v21, v10, vcc_lo
	v_lshlrev_b64_e32 v[17:18], 2, v[3:4]
	v_add_nc_u32_e32 v3, s6, v3
	v_add_co_u32 v15, vcc_lo, v20, v15
	s_wait_alu 0xfffd
	v_add_co_ci_u32_e32 v16, vcc_lo, v21, v16, vcc_lo
	global_store_b32 v[0:1], v8, off
	s_wait_dscnt 0x0
	s_clause 0x2
	global_store_b32 v[11:12], v5, off
	global_store_b32 v[9:10], v6, off
	;; [unrolled: 1-line block ×3, first 2 shown]
	v_lshlrev_b64_e32 v[0:1], 2, v[3:4]
	v_add_nc_u32_e32 v3, s6, v3
	ds_load_2addr_b32 v[7:8], v19 offset0:30 offset1:35
	ds_load_2addr_b32 v[11:12], v19 offset0:40 offset1:45
	v_add_co_u32 v5, vcc_lo, v20, v17
	v_lshlrev_b64_e32 v[9:10], 2, v[3:4]
	v_add_nc_u32_e32 v3, s6, v3
	s_wait_alu 0xfffd
	v_add_co_ci_u32_e32 v6, vcc_lo, v21, v18, vcc_lo
	v_add_co_u32 v0, vcc_lo, v20, v0
	s_delay_alu instid0(VALU_DEP_3) | instskip(SKIP_4) | instid1(VALU_DEP_3)
	v_lshlrev_b64_e32 v[15:16], 2, v[3:4]
	v_add_nc_u32_e32 v3, s6, v3
	s_wait_alu 0xfffd
	v_add_co_ci_u32_e32 v1, vcc_lo, v21, v1, vcc_lo
	v_add_co_u32 v9, vcc_lo, v20, v9
	v_lshlrev_b64_e32 v[2:3], 2, v[3:4]
	s_wait_alu 0xfffd
	v_add_co_ci_u32_e32 v10, vcc_lo, v21, v10, vcc_lo
	v_add_co_u32 v15, vcc_lo, v20, v15
	s_wait_alu 0xfffd
	v_add_co_ci_u32_e32 v16, vcc_lo, v21, v16, vcc_lo
	v_add_co_u32 v2, vcc_lo, v20, v2
	s_wait_alu 0xfffd
	v_add_co_ci_u32_e32 v3, vcc_lo, v21, v3, vcc_lo
	global_store_b32 v[5:6], v14, off
	s_wait_dscnt 0x1
	s_clause 0x1
	global_store_b32 v[0:1], v7, off
	global_store_b32 v[9:10], v8, off
	s_wait_dscnt 0x0
	s_clause 0x1
	global_store_b32 v[15:16], v11, off
	global_store_b32 v[2:3], v12, off
.LBB0_13:
	s_nop 0
	s_sendmsg sendmsg(MSG_DEALLOC_VGPRS)
	s_endpgm
	.section	.rodata,"a",@progbits
	.p2align	6, 0x0
	.amdhsa_kernel fft_rtc_back_len50_factors_10_5_wgs_50_tpt_5_half_op_CI_CI_sbrc_xy_z_unaligned
		.amdhsa_group_segment_fixed_size 0
		.amdhsa_private_segment_fixed_size 0
		.amdhsa_kernarg_size 104
		.amdhsa_user_sgpr_count 2
		.amdhsa_user_sgpr_dispatch_ptr 0
		.amdhsa_user_sgpr_queue_ptr 0
		.amdhsa_user_sgpr_kernarg_segment_ptr 1
		.amdhsa_user_sgpr_dispatch_id 0
		.amdhsa_user_sgpr_private_segment_size 0
		.amdhsa_wavefront_size32 1
		.amdhsa_uses_dynamic_stack 0
		.amdhsa_enable_private_segment 0
		.amdhsa_system_sgpr_workgroup_id_x 1
		.amdhsa_system_sgpr_workgroup_id_y 0
		.amdhsa_system_sgpr_workgroup_id_z 0
		.amdhsa_system_sgpr_workgroup_info 0
		.amdhsa_system_vgpr_workitem_id 0
		.amdhsa_next_free_vgpr 56
		.amdhsa_next_free_sgpr 32
		.amdhsa_reserve_vcc 1
		.amdhsa_float_round_mode_32 0
		.amdhsa_float_round_mode_16_64 0
		.amdhsa_float_denorm_mode_32 3
		.amdhsa_float_denorm_mode_16_64 3
		.amdhsa_fp16_overflow 0
		.amdhsa_workgroup_processor_mode 1
		.amdhsa_memory_ordered 1
		.amdhsa_forward_progress 0
		.amdhsa_round_robin_scheduling 0
		.amdhsa_exception_fp_ieee_invalid_op 0
		.amdhsa_exception_fp_denorm_src 0
		.amdhsa_exception_fp_ieee_div_zero 0
		.amdhsa_exception_fp_ieee_overflow 0
		.amdhsa_exception_fp_ieee_underflow 0
		.amdhsa_exception_fp_ieee_inexact 0
		.amdhsa_exception_int_div_zero 0
	.end_amdhsa_kernel
	.text
.Lfunc_end0:
	.size	fft_rtc_back_len50_factors_10_5_wgs_50_tpt_5_half_op_CI_CI_sbrc_xy_z_unaligned, .Lfunc_end0-fft_rtc_back_len50_factors_10_5_wgs_50_tpt_5_half_op_CI_CI_sbrc_xy_z_unaligned
                                        ; -- End function
	.section	.AMDGPU.csdata,"",@progbits
; Kernel info:
; codeLenInByte = 4648
; NumSgprs: 34
; NumVgprs: 56
; ScratchSize: 0
; MemoryBound: 0
; FloatMode: 240
; IeeeMode: 1
; LDSByteSize: 0 bytes/workgroup (compile time only)
; SGPRBlocks: 4
; VGPRBlocks: 6
; NumSGPRsForWavesPerEU: 34
; NumVGPRsForWavesPerEU: 56
; Occupancy: 16
; WaveLimiterHint : 1
; COMPUTE_PGM_RSRC2:SCRATCH_EN: 0
; COMPUTE_PGM_RSRC2:USER_SGPR: 2
; COMPUTE_PGM_RSRC2:TRAP_HANDLER: 0
; COMPUTE_PGM_RSRC2:TGID_X_EN: 1
; COMPUTE_PGM_RSRC2:TGID_Y_EN: 0
; COMPUTE_PGM_RSRC2:TGID_Z_EN: 0
; COMPUTE_PGM_RSRC2:TIDIG_COMP_CNT: 0
	.text
	.p2alignl 7, 3214868480
	.fill 96, 4, 3214868480
	.type	__hip_cuid_ce1a5ace89401727,@object ; @__hip_cuid_ce1a5ace89401727
	.section	.bss,"aw",@nobits
	.globl	__hip_cuid_ce1a5ace89401727
__hip_cuid_ce1a5ace89401727:
	.byte	0                               ; 0x0
	.size	__hip_cuid_ce1a5ace89401727, 1

	.ident	"AMD clang version 19.0.0git (https://github.com/RadeonOpenCompute/llvm-project roc-6.4.0 25133 c7fe45cf4b819c5991fe208aaa96edf142730f1d)"
	.section	".note.GNU-stack","",@progbits
	.addrsig
	.addrsig_sym __hip_cuid_ce1a5ace89401727
	.amdgpu_metadata
---
amdhsa.kernels:
  - .args:
      - .actual_access:  read_only
        .address_space:  global
        .offset:         0
        .size:           8
        .value_kind:     global_buffer
      - .offset:         8
        .size:           8
        .value_kind:     by_value
      - .actual_access:  read_only
        .address_space:  global
        .offset:         16
        .size:           8
        .value_kind:     global_buffer
      - .actual_access:  read_only
        .address_space:  global
        .offset:         24
        .size:           8
        .value_kind:     global_buffer
      - .actual_access:  read_only
        .address_space:  global
        .offset:         32
        .size:           8
        .value_kind:     global_buffer
      - .offset:         40
        .size:           8
        .value_kind:     by_value
      - .actual_access:  read_only
        .address_space:  global
        .offset:         48
        .size:           8
        .value_kind:     global_buffer
      - .actual_access:  read_only
        .address_space:  global
        .offset:         56
        .size:           8
        .value_kind:     global_buffer
      - .offset:         64
        .size:           4
        .value_kind:     by_value
      - .actual_access:  read_only
        .address_space:  global
        .offset:         72
        .size:           8
        .value_kind:     global_buffer
      - .actual_access:  read_only
        .address_space:  global
        .offset:         80
        .size:           8
        .value_kind:     global_buffer
      - .actual_access:  read_only
        .address_space:  global
        .offset:         88
        .size:           8
        .value_kind:     global_buffer
      - .actual_access:  write_only
        .address_space:  global
        .offset:         96
        .size:           8
        .value_kind:     global_buffer
    .group_segment_fixed_size: 0
    .kernarg_segment_align: 8
    .kernarg_segment_size: 104
    .language:       OpenCL C
    .language_version:
      - 2
      - 0
    .max_flat_workgroup_size: 50
    .name:           fft_rtc_back_len50_factors_10_5_wgs_50_tpt_5_half_op_CI_CI_sbrc_xy_z_unaligned
    .private_segment_fixed_size: 0
    .sgpr_count:     34
    .sgpr_spill_count: 0
    .symbol:         fft_rtc_back_len50_factors_10_5_wgs_50_tpt_5_half_op_CI_CI_sbrc_xy_z_unaligned.kd
    .uniform_work_group_size: 1
    .uses_dynamic_stack: false
    .vgpr_count:     56
    .vgpr_spill_count: 0
    .wavefront_size: 32
    .workgroup_processor_mode: 1
amdhsa.target:   amdgcn-amd-amdhsa--gfx1201
amdhsa.version:
  - 1
  - 2
...

	.end_amdgpu_metadata
